;; amdgpu-corpus repo=ROCm/rocFFT kind=compiled arch=gfx906 opt=O3
	.text
	.amdgcn_target "amdgcn-amd-amdhsa--gfx906"
	.amdhsa_code_object_version 6
	.protected	fft_rtc_fwd_len1764_factors_2_2_3_3_7_7_wgs_126_tpt_126_halfLds_sp_op_CI_CI_unitstride_sbrr_dirReg ; -- Begin function fft_rtc_fwd_len1764_factors_2_2_3_3_7_7_wgs_126_tpt_126_halfLds_sp_op_CI_CI_unitstride_sbrr_dirReg
	.globl	fft_rtc_fwd_len1764_factors_2_2_3_3_7_7_wgs_126_tpt_126_halfLds_sp_op_CI_CI_unitstride_sbrr_dirReg
	.p2align	8
	.type	fft_rtc_fwd_len1764_factors_2_2_3_3_7_7_wgs_126_tpt_126_halfLds_sp_op_CI_CI_unitstride_sbrr_dirReg,@function
fft_rtc_fwd_len1764_factors_2_2_3_3_7_7_wgs_126_tpt_126_halfLds_sp_op_CI_CI_unitstride_sbrr_dirReg: ; @fft_rtc_fwd_len1764_factors_2_2_3_3_7_7_wgs_126_tpt_126_halfLds_sp_op_CI_CI_unitstride_sbrr_dirReg
; %bb.0:
	s_load_dwordx4 s[8:11], s[4:5], 0x58
	s_load_dwordx4 s[12:15], s[4:5], 0x0
	;; [unrolled: 1-line block ×3, first 2 shown]
	v_mul_u32_u24_e32 v1, 0x209, v0
	v_mov_b32_e32 v7, 0
	v_mov_b32_e32 v5, 0
	s_waitcnt lgkmcnt(0)
	v_cmp_lt_u64_e64 s[0:1], s[14:15], 2
	v_add_u32_sdwa v9, s6, v1 dst_sel:DWORD dst_unused:UNUSED_PAD src0_sel:DWORD src1_sel:WORD_1
	v_mov_b32_e32 v10, v7
	s_and_b64 vcc, exec, s[0:1]
	v_mov_b32_e32 v6, 0
	s_cbranch_vccnz .LBB0_8
; %bb.1:
	s_load_dwordx2 s[0:1], s[4:5], 0x10
	s_add_u32 s2, s18, 8
	s_addc_u32 s3, s19, 0
	s_add_u32 s6, s16, 8
	s_addc_u32 s7, s17, 0
	v_mov_b32_e32 v5, 0
	s_waitcnt lgkmcnt(0)
	s_add_u32 s20, s0, 8
	v_mov_b32_e32 v6, 0
	v_mov_b32_e32 v1, v5
	s_addc_u32 s21, s1, 0
	s_mov_b64 s[22:23], 1
	v_mov_b32_e32 v2, v6
.LBB0_2:                                ; =>This Inner Loop Header: Depth=1
	s_load_dwordx2 s[24:25], s[20:21], 0x0
                                        ; implicit-def: $vgpr3_vgpr4
	s_waitcnt lgkmcnt(0)
	v_or_b32_e32 v8, s25, v10
	v_cmp_ne_u64_e32 vcc, 0, v[7:8]
	s_and_saveexec_b64 s[0:1], vcc
	s_xor_b64 s[26:27], exec, s[0:1]
	s_cbranch_execz .LBB0_4
; %bb.3:                                ;   in Loop: Header=BB0_2 Depth=1
	v_cvt_f32_u32_e32 v3, s24
	v_cvt_f32_u32_e32 v4, s25
	s_sub_u32 s0, 0, s24
	s_subb_u32 s1, 0, s25
	v_mac_f32_e32 v3, 0x4f800000, v4
	v_rcp_f32_e32 v3, v3
	v_mul_f32_e32 v3, 0x5f7ffffc, v3
	v_mul_f32_e32 v4, 0x2f800000, v3
	v_trunc_f32_e32 v4, v4
	v_mac_f32_e32 v3, 0xcf800000, v4
	v_cvt_u32_f32_e32 v4, v4
	v_cvt_u32_f32_e32 v3, v3
	v_mul_lo_u32 v8, s0, v4
	v_mul_hi_u32 v11, s0, v3
	v_mul_lo_u32 v13, s1, v3
	v_mul_lo_u32 v12, s0, v3
	v_add_u32_e32 v8, v11, v8
	v_add_u32_e32 v8, v8, v13
	v_mul_hi_u32 v11, v3, v12
	v_mul_lo_u32 v13, v3, v8
	v_mul_hi_u32 v15, v3, v8
	v_mul_hi_u32 v14, v4, v12
	v_mul_lo_u32 v12, v4, v12
	v_mul_hi_u32 v16, v4, v8
	v_add_co_u32_e32 v11, vcc, v11, v13
	v_addc_co_u32_e32 v13, vcc, 0, v15, vcc
	v_mul_lo_u32 v8, v4, v8
	v_add_co_u32_e32 v11, vcc, v11, v12
	v_addc_co_u32_e32 v11, vcc, v13, v14, vcc
	v_addc_co_u32_e32 v12, vcc, 0, v16, vcc
	v_add_co_u32_e32 v8, vcc, v11, v8
	v_addc_co_u32_e32 v11, vcc, 0, v12, vcc
	v_add_co_u32_e32 v3, vcc, v3, v8
	v_addc_co_u32_e32 v4, vcc, v4, v11, vcc
	v_mul_lo_u32 v8, s0, v4
	v_mul_hi_u32 v11, s0, v3
	v_mul_lo_u32 v12, s1, v3
	v_mul_lo_u32 v13, s0, v3
	v_add_u32_e32 v8, v11, v8
	v_add_u32_e32 v8, v8, v12
	v_mul_lo_u32 v14, v3, v8
	v_mul_hi_u32 v15, v3, v13
	v_mul_hi_u32 v16, v3, v8
	v_mul_hi_u32 v12, v4, v13
	v_mul_lo_u32 v13, v4, v13
	v_mul_hi_u32 v11, v4, v8
	v_add_co_u32_e32 v14, vcc, v15, v14
	v_addc_co_u32_e32 v15, vcc, 0, v16, vcc
	v_mul_lo_u32 v8, v4, v8
	v_add_co_u32_e32 v13, vcc, v14, v13
	v_addc_co_u32_e32 v12, vcc, v15, v12, vcc
	v_addc_co_u32_e32 v11, vcc, 0, v11, vcc
	v_add_co_u32_e32 v8, vcc, v12, v8
	v_addc_co_u32_e32 v11, vcc, 0, v11, vcc
	v_add_co_u32_e32 v8, vcc, v3, v8
	v_addc_co_u32_e32 v11, vcc, v4, v11, vcc
	v_mad_u64_u32 v[3:4], s[0:1], v9, v11, 0
	v_mul_hi_u32 v12, v9, v8
	v_add_co_u32_e32 v13, vcc, v12, v3
	v_addc_co_u32_e32 v14, vcc, 0, v4, vcc
	v_mad_u64_u32 v[3:4], s[0:1], v10, v8, 0
	v_mad_u64_u32 v[11:12], s[0:1], v10, v11, 0
	v_add_co_u32_e32 v3, vcc, v13, v3
	v_addc_co_u32_e32 v3, vcc, v14, v4, vcc
	v_addc_co_u32_e32 v4, vcc, 0, v12, vcc
	v_add_co_u32_e32 v8, vcc, v3, v11
	v_addc_co_u32_e32 v11, vcc, 0, v4, vcc
	v_mul_lo_u32 v12, s25, v8
	v_mul_lo_u32 v13, s24, v11
	v_mad_u64_u32 v[3:4], s[0:1], s24, v8, 0
	v_add3_u32 v4, v4, v13, v12
	v_sub_u32_e32 v12, v10, v4
	v_mov_b32_e32 v13, s25
	v_sub_co_u32_e32 v3, vcc, v9, v3
	v_subb_co_u32_e64 v12, s[0:1], v12, v13, vcc
	v_subrev_co_u32_e64 v13, s[0:1], s24, v3
	v_subbrev_co_u32_e64 v12, s[0:1], 0, v12, s[0:1]
	v_cmp_le_u32_e64 s[0:1], s25, v12
	v_cndmask_b32_e64 v14, 0, -1, s[0:1]
	v_cmp_le_u32_e64 s[0:1], s24, v13
	v_cndmask_b32_e64 v13, 0, -1, s[0:1]
	v_cmp_eq_u32_e64 s[0:1], s25, v12
	v_cndmask_b32_e64 v12, v14, v13, s[0:1]
	v_add_co_u32_e64 v13, s[0:1], 2, v8
	v_addc_co_u32_e64 v14, s[0:1], 0, v11, s[0:1]
	v_add_co_u32_e64 v15, s[0:1], 1, v8
	v_addc_co_u32_e64 v16, s[0:1], 0, v11, s[0:1]
	v_subb_co_u32_e32 v4, vcc, v10, v4, vcc
	v_cmp_ne_u32_e64 s[0:1], 0, v12
	v_cmp_le_u32_e32 vcc, s25, v4
	v_cndmask_b32_e64 v12, v16, v14, s[0:1]
	v_cndmask_b32_e64 v14, 0, -1, vcc
	v_cmp_le_u32_e32 vcc, s24, v3
	v_cndmask_b32_e64 v3, 0, -1, vcc
	v_cmp_eq_u32_e32 vcc, s25, v4
	v_cndmask_b32_e32 v3, v14, v3, vcc
	v_cmp_ne_u32_e32 vcc, 0, v3
	v_cndmask_b32_e64 v3, v15, v13, s[0:1]
	v_cndmask_b32_e32 v4, v11, v12, vcc
	v_cndmask_b32_e32 v3, v8, v3, vcc
.LBB0_4:                                ;   in Loop: Header=BB0_2 Depth=1
	s_andn2_saveexec_b64 s[0:1], s[26:27]
	s_cbranch_execz .LBB0_6
; %bb.5:                                ;   in Loop: Header=BB0_2 Depth=1
	v_cvt_f32_u32_e32 v3, s24
	s_sub_i32 s26, 0, s24
	v_rcp_iflag_f32_e32 v3, v3
	v_mul_f32_e32 v3, 0x4f7ffffe, v3
	v_cvt_u32_f32_e32 v3, v3
	v_mul_lo_u32 v4, s26, v3
	v_mul_hi_u32 v4, v3, v4
	v_add_u32_e32 v3, v3, v4
	v_mul_hi_u32 v3, v9, v3
	v_mul_lo_u32 v4, v3, s24
	v_add_u32_e32 v8, 1, v3
	v_sub_u32_e32 v4, v9, v4
	v_subrev_u32_e32 v11, s24, v4
	v_cmp_le_u32_e32 vcc, s24, v4
	v_cndmask_b32_e32 v4, v4, v11, vcc
	v_cndmask_b32_e32 v3, v3, v8, vcc
	v_add_u32_e32 v8, 1, v3
	v_cmp_le_u32_e32 vcc, s24, v4
	v_cndmask_b32_e32 v3, v3, v8, vcc
	v_mov_b32_e32 v4, v7
.LBB0_6:                                ;   in Loop: Header=BB0_2 Depth=1
	s_or_b64 exec, exec, s[0:1]
	v_mul_lo_u32 v8, v4, s24
	v_mul_lo_u32 v13, v3, s25
	v_mad_u64_u32 v[11:12], s[0:1], v3, s24, 0
	s_load_dwordx2 s[0:1], s[6:7], 0x0
	s_load_dwordx2 s[24:25], s[2:3], 0x0
	v_add3_u32 v8, v12, v13, v8
	v_sub_co_u32_e32 v9, vcc, v9, v11
	v_subb_co_u32_e32 v8, vcc, v10, v8, vcc
	s_waitcnt lgkmcnt(0)
	v_mul_lo_u32 v10, s0, v8
	v_mul_lo_u32 v11, s1, v9
	v_mad_u64_u32 v[5:6], s[0:1], s0, v9, v[5:6]
	v_mul_lo_u32 v8, s24, v8
	v_mul_lo_u32 v12, s25, v9
	v_mad_u64_u32 v[1:2], s[0:1], s24, v9, v[1:2]
	s_add_u32 s22, s22, 1
	s_addc_u32 s23, s23, 0
	s_add_u32 s2, s2, 8
	v_add3_u32 v2, v12, v2, v8
	s_addc_u32 s3, s3, 0
	v_mov_b32_e32 v8, s14
	s_add_u32 s6, s6, 8
	v_mov_b32_e32 v9, s15
	s_addc_u32 s7, s7, 0
	v_cmp_ge_u64_e32 vcc, s[22:23], v[8:9]
	s_add_u32 s20, s20, 8
	v_add3_u32 v6, v11, v6, v10
	s_addc_u32 s21, s21, 0
	s_cbranch_vccnz .LBB0_9
; %bb.7:                                ;   in Loop: Header=BB0_2 Depth=1
	v_mov_b32_e32 v10, v4
	v_mov_b32_e32 v9, v3
	s_branch .LBB0_2
.LBB0_8:
	v_mov_b32_e32 v1, v5
	v_mov_b32_e32 v3, v9
	;; [unrolled: 1-line block ×4, first 2 shown]
.LBB0_9:
	s_load_dwordx2 s[4:5], s[4:5], 0x28
	s_lshl_b64 s[6:7], s[14:15], 3
	s_add_u32 s2, s18, s6
	s_addc_u32 s3, s19, s7
                                        ; implicit-def: $sgpr14_sgpr15
                                        ; implicit-def: $vgpr41
	s_waitcnt lgkmcnt(0)
	v_cmp_gt_u64_e64 s[0:1], s[4:5], v[3:4]
	v_cmp_le_u64_e32 vcc, s[4:5], v[3:4]
	s_and_saveexec_b64 s[4:5], vcc
	s_xor_b64 s[4:5], exec, s[4:5]
; %bb.10:
	s_mov_b32 s14, 0x2082083
	v_mul_hi_u32 v5, v0, s14
	s_mov_b64 s[14:15], 0
	v_mul_u32_u24_e32 v5, 0x7e, v5
	v_sub_u32_e32 v41, v0, v5
                                        ; implicit-def: $vgpr0
                                        ; implicit-def: $vgpr5_vgpr6
; %bb.11:
	s_or_saveexec_b64 s[4:5], s[4:5]
	v_mov_b32_e32 v28, s15
	v_mov_b32_e32 v20, s15
	;; [unrolled: 1-line block ×14, first 2 shown]
                                        ; implicit-def: $vgpr30
                                        ; implicit-def: $vgpr26
                                        ; implicit-def: $vgpr22
                                        ; implicit-def: $vgpr10
                                        ; implicit-def: $vgpr12
                                        ; implicit-def: $vgpr33
                                        ; implicit-def: $vgpr35
	s_xor_b64 exec, exec, s[4:5]
	s_cbranch_execz .LBB0_13
; %bb.12:
	s_add_u32 s6, s16, s6
	s_addc_u32 s7, s17, s7
	s_load_dwordx2 s[6:7], s[6:7], 0x0
	s_mov_b32 s14, 0x2082083
	v_mul_hi_u32 v9, v0, s14
	v_lshlrev_b64 v[5:6], 3, v[5:6]
	s_waitcnt lgkmcnt(0)
	v_mul_lo_u32 v10, s7, v3
	v_mul_lo_u32 v11, s6, v4
	v_mad_u64_u32 v[7:8], s[6:7], s6, v3, 0
	v_mul_u32_u24_e32 v9, 0x7e, v9
	v_sub_u32_e32 v41, v0, v9
	v_add3_u32 v8, v8, v11, v10
	v_lshlrev_b64 v[7:8], 3, v[7:8]
	v_mov_b32_e32 v0, s9
	v_add_co_u32_e32 v7, vcc, s8, v7
	v_addc_co_u32_e32 v0, vcc, v0, v8, vcc
	v_add_co_u32_e32 v5, vcc, v7, v5
	v_addc_co_u32_e32 v0, vcc, v0, v6, vcc
	v_lshlrev_b32_e32 v6, 3, v41
	v_add_co_u32_e32 v5, vcc, v5, v6
	v_addc_co_u32_e32 v6, vcc, 0, v0, vcc
	s_movk_i32 s6, 0x1000
	v_add_co_u32_e32 v36, vcc, s6, v5
	v_addc_co_u32_e32 v37, vcc, 0, v6, vcc
	s_movk_i32 s6, 0x2000
	v_add_co_u32_e32 v38, vcc, s6, v5
	v_addc_co_u32_e32 v39, vcc, 0, v6, vcc
	global_load_dwordx2 v[27:28], v[5:6], off
	global_load_dwordx2 v[19:20], v[5:6], off offset:1008
	global_load_dwordx2 v[7:8], v[5:6], off offset:2016
	;; [unrolled: 1-line block ×7, first 2 shown]
	v_add_co_u32_e32 v5, vcc, 0x3000, v5
	v_addc_co_u32_e32 v6, vcc, 0, v6, vcc
	global_load_dwordx2 v[34:35], v[36:37], off offset:3968
	global_load_dwordx2 v[32:33], v[38:39], off offset:880
	;; [unrolled: 1-line block ×6, first 2 shown]
.LBB0_13:
	s_or_b64 exec, exec, s[4:5]
	s_waitcnt vmcnt(7)
	v_sub_f32_e32 v37, v28, v30
	v_sub_f32_e32 v6, v27, v29
	v_fma_f32 v36, v28, 2.0, -v37
	s_waitcnt vmcnt(5)
	v_sub_f32_e32 v28, v19, v34
	v_fma_f32 v5, v27, 2.0, -v6
	v_fma_f32 v27, v19, 2.0, -v28
	v_lshl_add_u32 v19, v41, 3, 0
	ds_write_b64 v19, v[5:6]
	s_waitcnt vmcnt(4)
	v_sub_f32_e32 v6, v7, v32
	v_add_u32_e32 v45, 0xfc, v41
	v_fma_f32 v5, v7, 2.0, -v6
	v_lshl_add_u32 v7, v45, 3, 0
	ds_write_b64 v7, v[5:6]
	s_waitcnt vmcnt(3)
	v_sub_f32_e32 v6, v13, v25
	v_add_u32_e32 v44, 0x17a, v41
	;; [unrolled: 6-line block ×3, first 2 shown]
	v_fma_f32 v5, v15, 2.0, -v6
	v_lshl_add_u32 v15, v43, 3, 0
	ds_write_b64 v15, v[5:6]
	s_waitcnt vmcnt(1)
	v_sub_f32_e32 v6, v17, v9
	v_fma_f32 v5, v17, 2.0, -v6
	v_add_u32_e32 v17, 0x276, v41
	v_lshl_add_u32 v25, v17, 3, 0
	v_add_u32_e32 v42, 0x7e, v41
	ds_write_b64 v25, v[5:6]
	s_waitcnt vmcnt(0)
	v_sub_f32_e32 v6, v23, v11
	v_add_u32_e32 v11, 0x2f4, v41
	v_lshlrev_b32_e32 v0, 2, v41
	v_sub_f32_e32 v9, v8, v33
	v_lshl_add_u32 v34, v42, 3, 0
	v_fma_f32 v5, v23, 2.0, -v6
	v_lshl_add_u32 v23, v11, 3, 0
	v_sub_u32_e32 v0, v19, v0
	v_fma_f32 v8, v8, 2.0, -v9
	ds_write_b64 v34, v[27:28]
	ds_write_b64 v23, v[5:6]
	s_load_dwordx2 s[2:3], s[2:3], 0x0
	s_waitcnt lgkmcnt(0)
	s_barrier
	v_add_u32_e32 v38, 0xa00, v0
	v_add_u32_e32 v39, 0xe00, v0
	;; [unrolled: 1-line block ×6, first 2 shown]
	ds_read2_b32 v[52:53], v0 offset1:126
	ds_read2_b32 v[31:32], v38 offset0:116 offset1:242
	ds_read2_b32 v[29:30], v39 offset0:112 offset1:238
	;; [unrolled: 1-line block ×6, first 2 shown]
	s_waitcnt lgkmcnt(0)
	s_barrier
	ds_write_b64 v7, v[8:9]
	v_sub_f32_e32 v8, v14, v26
	v_fma_f32 v7, v14, 2.0, -v8
	ds_write_b64 v13, v[7:8]
	v_sub_f32_e32 v8, v16, v22
	v_fma_f32 v7, v16, 2.0, -v8
	ds_write_b64 v15, v[7:8]
	v_sub_f32_e32 v8, v18, v10
	v_fma_f32 v7, v18, 2.0, -v8
	ds_write_b64 v25, v[7:8]
	v_sub_f32_e32 v8, v24, v12
	v_sub_f32_e32 v21, v20, v35
	v_fma_f32 v7, v24, 2.0, -v8
	v_and_b32_e32 v9, 1, v41
	v_fma_f32 v20, v20, 2.0, -v21
	ds_write_b64 v23, v[7:8]
	v_lshlrev_b32_e32 v7, 3, v9
	ds_write_b64 v19, v[36:37]
	ds_write_b64 v34, v[20:21]
	s_waitcnt lgkmcnt(0)
	s_barrier
	global_load_dwordx2 v[15:16], v7, s[12:13]
	ds_read2_b32 v[7:8], v38 offset0:116 offset1:242
	s_movk_i32 s4, 0xfc
	v_lshlrev_b32_e32 v12, 1, v41
	v_and_or_b32 v12, v12, s4, v9
	v_lshl_add_u32 v51, v12, 2, 0
	ds_read2_b32 v[39:40], v39 offset0:112 offset1:238
	ds_read2_b32 v[21:22], v48 offset0:120 offset1:246
	ds_read2_b32 v[25:26], v0 offset1:126
	ds_read2_b32 v[23:24], v46 offset0:124 offset1:250
	ds_read2_b32 v[37:38], v47 offset0:108 offset1:234
	;; [unrolled: 1-line block ×3, first 2 shown]
	s_waitcnt vmcnt(0) lgkmcnt(0)
	s_barrier
	s_movk_i32 s4, 0x1fc
	v_lshlrev_b32_e32 v13, 1, v42
	v_and_or_b32 v13, v13, s4, v9
	s_movk_i32 s4, 0x3fc
	s_movk_i32 s5, 0x5fc
	v_add_u32_e32 v59, 0x800, v0
	v_add_u32_e32 v58, 0xc00, v0
                                        ; implicit-def: $vgpr50
	v_mul_f32_e32 v10, v8, v16
	v_fma_f32 v10, v32, v15, -v10
	v_sub_f32_e32 v10, v52, v10
	v_fma_f32 v12, v52, 2.0, -v10
	ds_write2_b32 v51, v12, v10 offset1:2
	v_mul_f32_e32 v10, v39, v16
	v_fma_f32 v10, v29, v15, -v10
	v_sub_f32_e32 v10, v53, v10
	v_fma_f32 v12, v53, 2.0, -v10
	v_lshl_add_u32 v52, v13, 2, 0
	ds_write2_b32 v52, v12, v10 offset1:2
	v_mul_f32_e32 v10, v40, v16
	v_fma_f32 v10, v30, v15, -v10
	v_lshlrev_b32_e32 v12, 1, v45
	v_sub_f32_e32 v10, v54, v10
	v_and_or_b32 v12, v12, s4, v9
	v_lshl_add_u32 v53, v12, 2, 0
	v_fma_f32 v12, v54, 2.0, -v10
	ds_write2_b32 v53, v12, v10 offset1:2
	v_mul_f32_e32 v10, v37, v16
	v_fma_f32 v10, v27, v15, -v10
	v_lshlrev_b32_e32 v13, 1, v44
	v_sub_f32_e32 v10, v55, v10
	v_and_or_b32 v13, v13, s4, v9
	v_fma_f32 v12, v55, 2.0, -v10
	v_lshl_add_u32 v54, v13, 2, 0
	ds_write2_b32 v54, v12, v10 offset1:2
	v_mul_f32_e32 v10, v38, v16
	v_fma_f32 v10, v28, v15, -v10
	s_movk_i32 s4, 0x7fc
	v_lshlrev_b32_e32 v12, 1, v43
	v_sub_f32_e32 v10, v56, v10
	v_and_or_b32 v12, v12, s4, v9
	v_lshl_add_u32 v55, v12, 2, 0
	v_fma_f32 v12, v56, 2.0, -v10
	ds_write2_b32 v55, v12, v10 offset1:2
	v_mul_f32_e32 v10, v35, v16
	v_fma_f32 v10, v5, v15, -v10
	v_lshlrev_b32_e32 v13, 1, v17
	v_sub_f32_e32 v10, v57, v10
	v_and_or_b32 v13, v13, s5, v9
	v_fma_f32 v12, v57, 2.0, -v10
	v_lshl_add_u32 v56, v13, 2, 0
	ds_write2_b32 v56, v12, v10 offset1:2
	v_lshlrev_b32_e32 v10, 1, v11
	v_and_or_b32 v9, v10, s4, v9
	v_mul_f32_e32 v10, v36, v16
	v_fma_f32 v10, v6, v15, -v10
	v_sub_f32_e32 v48, v31, v10
	v_lshl_add_u32 v57, v9, 2, 0
	v_fma_f32 v31, v31, 2.0, -v48
	ds_write2_b32 v57, v31, v48 offset1:2
	s_waitcnt lgkmcnt(0)
	s_barrier
	ds_read2_b32 v[11:12], v0 offset1:126
	ds_read2_b32 v[33:34], v59 offset0:76 offset1:202
	ds_read2_b32 v[19:20], v47 offset0:24 offset1:150
	;; [unrolled: 1-line block ×5, first 2 shown]
	s_movk_i32 s4, 0x54
	v_cmp_gt_u32_e32 vcc, s4, v41
	s_and_saveexec_b64 s[4:5], vcc
	s_cbranch_execz .LBB0_15
; %bb.14:
	ds_read_b32 v31, v0 offset:2016
	ds_read_b32 v48, v0 offset:4368
	;; [unrolled: 1-line block ×3, first 2 shown]
.LBB0_15:
	s_or_b64 exec, exec, s[4:5]
	v_mul_f32_e32 v32, v32, v16
	v_fmac_f32_e32 v32, v8, v15
	v_mul_f32_e32 v8, v29, v16
	v_fmac_f32_e32 v8, v39, v15
	v_mul_f32_e32 v29, v30, v16
	v_mul_f32_e32 v27, v27, v16
	;; [unrolled: 1-line block ×5, first 2 shown]
	v_fmac_f32_e32 v29, v40, v15
	v_fmac_f32_e32 v27, v37, v15
	v_fmac_f32_e32 v28, v38, v15
	v_fmac_f32_e32 v5, v35, v15
	v_fmac_f32_e32 v6, v36, v15
	v_sub_f32_e32 v15, v25, v32
	v_sub_f32_e32 v8, v26, v8
	v_fma_f32 v16, v25, 2.0, -v15
	v_fma_f32 v25, v26, 2.0, -v8
	v_sub_f32_e32 v26, v23, v29
	v_sub_f32_e32 v27, v24, v27
	;; [unrolled: 1-line block ×4, first 2 shown]
	v_fma_f32 v23, v23, 2.0, -v26
	v_fma_f32 v24, v24, 2.0, -v27
	;; [unrolled: 1-line block ×4, first 2 shown]
	v_sub_f32_e32 v35, v7, v6
	v_fma_f32 v29, v7, 2.0, -v35
	s_waitcnt lgkmcnt(0)
	s_barrier
	ds_write2_b32 v51, v16, v15 offset1:2
	ds_write2_b32 v52, v25, v8 offset1:2
	;; [unrolled: 1-line block ×7, first 2 shown]
	s_waitcnt lgkmcnt(0)
	s_barrier
	ds_read2_b32 v[7:8], v0 offset1:126
	ds_read2_b32 v[25:26], v59 offset0:76 offset1:202
	ds_read2_b32 v[23:24], v47 offset0:24 offset1:150
	;; [unrolled: 1-line block ×5, first 2 shown]
                                        ; implicit-def: $vgpr30
	s_and_saveexec_b64 s[4:5], vcc
	s_cbranch_execz .LBB0_17
; %bb.16:
	ds_read_b32 v29, v0 offset:2016
	ds_read_b32 v35, v0 offset:4368
	;; [unrolled: 1-line block ×3, first 2 shown]
.LBB0_17:
	s_or_b64 exec, exec, s[4:5]
	v_and_b32_e32 v27, 3, v41
	v_lshlrev_b32_e32 v28, 4, v27
	global_load_dwordx4 v[51:54], v28, s[12:13] offset:16
	v_and_b32_e32 v59, 3, v44
	v_lshlrev_b32_e32 v49, 4, v59
	global_load_dwordx2 v[46:47], v49, s[12:13] offset:16
	s_waitcnt vmcnt(1)
	v_mul_f32_e32 v32, v33, v52
	s_waitcnt lgkmcnt(4)
	v_mul_f32_e32 v28, v25, v52
	v_fmac_f32_e32 v32, v25, v51
	s_waitcnt lgkmcnt(3)
	v_mul_f32_e32 v25, v23, v54
	v_fma_f32 v28, v33, v51, -v28
	v_fma_f32 v25, v19, v53, -v25
	v_mul_f32_e32 v33, v19, v54
	v_and_b32_e32 v19, 3, v42
	v_fmac_f32_e32 v33, v23, v53
	v_lshlrev_b32_e32 v23, 4, v19
	global_load_dword v36, v23, s[12:13] offset:16
	global_load_dwordx2 v[55:56], v49, s[12:13] offset:20
	global_load_dwordx2 v[57:58], v49, s[12:13] offset:24
	v_mul_f32_e32 v39, v13, v54
	s_waitcnt lgkmcnt(0)
	v_fmac_f32_e32 v39, v15, v53
	s_waitcnt vmcnt(3)
	v_mul_f32_e32 v23, v26, v47
	s_waitcnt vmcnt(2)
	v_fma_f32 v23, v34, v36, -v23
	v_mul_f32_e32 v34, v34, v47
	v_fmac_f32_e32 v34, v26, v36
	s_waitcnt vmcnt(0)
	v_mul_f32_e32 v26, v24, v58
	v_fma_f32 v38, v20, v56, -v26
	v_mul_f32_e32 v40, v20, v58
	v_mul_f32_e32 v20, v21, v52
	v_fmac_f32_e32 v40, v24, v56
	v_fma_f32 v24, v17, v51, -v20
	v_mul_f32_e32 v36, v17, v52
	v_mul_f32_e32 v17, v15, v54
	v_fma_f32 v37, v13, v53, -v17
	v_mul_f32_e32 v13, v22, v55
	v_fmac_f32_e32 v36, v21, v51
	v_fma_f32 v21, v18, v46, -v13
	global_load_dword v13, v49, s[12:13] offset:28
	v_mul_f32_e32 v26, v18, v55
	v_fmac_f32_e32 v26, v22, v46
	v_add_f32_e32 v18, v24, v37
	s_waitcnt vmcnt(0)
	s_barrier
	v_mul_f32_e32 v15, v16, v13
	v_mul_f32_e32 v47, v14, v13
	v_mul_f32_e32 v13, v35, v52
	v_fma_f32 v22, v14, v57, -v15
	v_fma_f32 v46, v48, v51, -v13
	v_mul_f32_e32 v13, v30, v54
	v_add_f32_e32 v14, v28, v25
	v_fma_f32 v49, v50, v53, -v13
	v_add_f32_e32 v13, v11, v28
	v_fma_f32 v11, -0.5, v14, v11
	v_fmac_f32_e32 v47, v16, v57
	v_sub_f32_e32 v14, v32, v33
	v_mov_b32_e32 v15, v11
	v_add_f32_e32 v16, v23, v38
	v_fmac_f32_e32 v15, 0x3f5db3d7, v14
	v_fmac_f32_e32 v11, 0xbf5db3d7, v14
	v_add_f32_e32 v14, v12, v23
	v_fmac_f32_e32 v12, -0.5, v16
	v_sub_f32_e32 v16, v34, v40
	v_mov_b32_e32 v17, v12
	v_mul_f32_e32 v50, v50, v54
	v_fmac_f32_e32 v17, 0x3f5db3d7, v16
	v_fmac_f32_e32 v12, 0xbf5db3d7, v16
	v_add_f32_e32 v16, v9, v24
	v_fma_f32 v9, -0.5, v18, v9
	v_fmac_f32_e32 v50, v30, v53
	v_sub_f32_e32 v18, v36, v39
	v_mov_b32_e32 v20, v9
	v_add_f32_e32 v30, v21, v22
	v_mul_f32_e32 v48, v48, v52
	v_fmac_f32_e32 v20, 0x3f5db3d7, v18
	v_fmac_f32_e32 v9, 0xbf5db3d7, v18
	v_add_f32_e32 v18, v10, v21
	v_fmac_f32_e32 v10, -0.5, v30
	v_fmac_f32_e32 v48, v35, v51
	v_sub_f32_e32 v30, v26, v47
	v_mov_b32_e32 v54, v10
	v_add_f32_e32 v35, v46, v49
	v_fmac_f32_e32 v54, 0x3f5db3d7, v30
	v_fmac_f32_e32 v10, 0xbf5db3d7, v30
	v_add_f32_e32 v30, v31, v46
	v_fmac_f32_e32 v31, -0.5, v35
	v_sub_f32_e32 v51, v48, v50
	v_mov_b32_e32 v35, v31
	v_fmac_f32_e32 v35, 0x3f5db3d7, v51
	v_fmac_f32_e32 v31, 0xbf5db3d7, v51
	v_lshrrev_b32_e32 v51, 2, v41
	v_mul_u32_u24_e32 v51, 12, v51
	v_or_b32_e32 v51, v51, v27
	v_add_f32_e32 v13, v13, v25
	v_lshl_add_u32 v51, v51, 2, 0
	ds_write2_b32 v51, v13, v15 offset1:4
	ds_write_b32 v51, v11 offset:32
	v_lshrrev_b32_e32 v11, 2, v42
	v_mul_u32_u24_e32 v11, 12, v11
	v_or_b32_e32 v11, v11, v19
	v_lshl_add_u32 v52, v11, 2, 0
	v_lshrrev_b32_e32 v11, 2, v45
	v_mul_u32_u24_e32 v11, 12, v11
	v_or_b32_e32 v11, v11, v27
	v_add_f32_e32 v14, v14, v38
	v_add_f32_e32 v16, v16, v37
	v_lshl_add_u32 v53, v11, 2, 0
	ds_write2_b32 v52, v14, v17 offset1:4
	ds_write_b32 v52, v12 offset:32
	ds_write2_b32 v53, v16, v20 offset1:4
	ds_write_b32 v53, v9 offset:32
	v_lshrrev_b32_e32 v9, 2, v44
	v_mul_u32_u24_e32 v9, 12, v9
	v_or_b32_e32 v9, v9, v59
	v_add_f32_e32 v18, v18, v22
	v_lshl_add_u32 v55, v9, 2, 0
	v_add_f32_e32 v30, v30, v49
	ds_write2_b32 v55, v18, v54 offset1:4
	ds_write_b32 v55, v10 offset:32
	v_lshrrev_b32_e32 v54, 2, v43
	s_and_saveexec_b64 s[4:5], vcc
	s_cbranch_execz .LBB0_19
; %bb.18:
	v_mul_u32_u24_e32 v9, 12, v54
	v_or_b32_e32 v9, v9, v27
	v_lshl_add_u32 v9, v9, 2, 0
	ds_write2_b32 v9, v30, v35 offset1:4
	ds_write_b32 v9, v31 offset:32
.LBB0_19:
	s_or_b64 exec, exec, s[4:5]
	v_add_u32_e32 v9, 0x800, v0
	s_waitcnt lgkmcnt(0)
	s_barrier
	ds_read2_b32 v[19:20], v9 offset0:76 offset1:202
	v_add_u32_e32 v9, 0x1200, v0
	v_add_u32_e32 v13, 0xc00, v0
	ds_read2_b32 v[17:18], v9 offset0:24 offset1:150
	v_add_u32_e32 v9, 0x200, v0
	ds_read2_b32 v[15:16], v13 offset0:72 offset1:198
	v_add_u32_e32 v13, 0x1600, v0
	ds_read2_b32 v[11:12], v0 offset1:126
	ds_read2_b32 v[9:10], v9 offset0:124 offset1:250
	ds_read2_b32 v[13:14], v13 offset0:20 offset1:146
	s_and_saveexec_b64 s[4:5], vcc
	s_cbranch_execz .LBB0_21
; %bb.20:
	ds_read_b32 v30, v0 offset:2016
	ds_read_b32 v35, v0 offset:4368
	ds_read_b32 v31, v0 offset:6720
.LBB0_21:
	s_or_b64 exec, exec, s[4:5]
	v_add_f32_e32 v56, v7, v32
	v_add_f32_e32 v32, v32, v33
	v_fma_f32 v7, -0.5, v32, v7
	v_sub_f32_e32 v25, v28, v25
	v_mov_b32_e32 v28, v7
	v_add_f32_e32 v32, v34, v40
	v_fmac_f32_e32 v28, 0xbf5db3d7, v25
	v_fmac_f32_e32 v7, 0x3f5db3d7, v25
	v_add_f32_e32 v25, v8, v34
	v_fmac_f32_e32 v8, -0.5, v32
	v_add_f32_e32 v56, v56, v33
	v_sub_f32_e32 v23, v23, v38
	v_mov_b32_e32 v33, v8
	v_add_f32_e32 v32, v36, v39
	v_fmac_f32_e32 v33, 0xbf5db3d7, v23
	v_fmac_f32_e32 v8, 0x3f5db3d7, v23
	v_add_f32_e32 v23, v5, v36
	v_fma_f32 v5, -0.5, v32, v5
	v_sub_f32_e32 v24, v24, v37
	v_mov_b32_e32 v36, v5
	v_fmac_f32_e32 v36, 0xbf5db3d7, v24
	v_fmac_f32_e32 v5, 0x3f5db3d7, v24
	v_add_f32_e32 v24, v6, v26
	v_add_f32_e32 v26, v26, v47
	v_fmac_f32_e32 v6, -0.5, v26
	v_sub_f32_e32 v21, v21, v22
	v_mov_b32_e32 v22, v6
	v_fmac_f32_e32 v22, 0xbf5db3d7, v21
	v_fmac_f32_e32 v6, 0x3f5db3d7, v21
	v_add_f32_e32 v21, v29, v48
	v_add_f32_e32 v32, v21, v50
	;; [unrolled: 1-line block ×3, first 2 shown]
	v_fmac_f32_e32 v29, -0.5, v21
	v_sub_f32_e32 v21, v46, v49
	v_mov_b32_e32 v34, v29
	v_fmac_f32_e32 v34, 0xbf5db3d7, v21
	v_fmac_f32_e32 v29, 0x3f5db3d7, v21
	v_add_f32_e32 v25, v25, v40
	v_add_f32_e32 v23, v23, v39
	;; [unrolled: 1-line block ×3, first 2 shown]
	s_waitcnt lgkmcnt(0)
	s_barrier
	ds_write2_b32 v51, v56, v28 offset1:4
	ds_write_b32 v51, v7 offset:32
	ds_write2_b32 v52, v25, v33 offset1:4
	ds_write_b32 v52, v8 offset:32
	;; [unrolled: 2-line block ×4, first 2 shown]
	s_and_saveexec_b64 s[4:5], vcc
	s_cbranch_execz .LBB0_23
; %bb.22:
	v_mul_u32_u24_e32 v5, 12, v54
	v_or_b32_e32 v5, v5, v27
	v_lshl_add_u32 v5, v5, 2, 0
	ds_write2_b32 v5, v32, v34 offset1:4
	ds_write_b32 v5, v29 offset:32
.LBB0_23:
	s_or_b64 exec, exec, s[4:5]
	v_add_u32_e32 v7, 0x800, v0
	s_waitcnt lgkmcnt(0)
	s_barrier
	ds_read2_b32 v[27:28], v7 offset0:76 offset1:202
	v_add_u32_e32 v7, 0x1200, v0
	v_add_u32_e32 v21, 0xc00, v0
	ds_read2_b32 v[25:26], v7 offset0:24 offset1:150
	v_add_u32_e32 v7, 0x200, v0
	ds_read2_b32 v[23:24], v21 offset0:72 offset1:198
	v_add_u32_e32 v21, 0x1600, v0
	ds_read2_b32 v[5:6], v0 offset1:126
	ds_read2_b32 v[7:8], v7 offset0:124 offset1:250
	ds_read2_b32 v[21:22], v21 offset0:20 offset1:146
	s_and_saveexec_b64 s[4:5], vcc
	s_cbranch_execz .LBB0_25
; %bb.24:
	ds_read_b32 v32, v0 offset:2016
	ds_read_b32 v34, v0 offset:4368
	;; [unrolled: 1-line block ×3, first 2 shown]
.LBB0_25:
	s_or_b64 exec, exec, s[4:5]
	s_movk_i32 s4, 0xab
	v_mul_lo_u16_sdwa v33, v41, s4 dst_sel:DWORD dst_unused:UNUSED_PAD src0_sel:BYTE_0 src1_sel:DWORD
	v_lshrrev_b16_e32 v46, 11, v33
	v_mul_lo_u16_e32 v33, 12, v46
	v_sub_u16_e32 v47, v41, v33
	v_mov_b32_e32 v40, 4
	v_lshlrev_b32_sdwa v33, v40, v47 dst_sel:DWORD dst_unused:UNUSED_PAD src0_sel:DWORD src1_sel:BYTE_0
	global_load_dwordx4 v[36:39], v33, s[12:13] offset:80
	s_waitcnt vmcnt(0) lgkmcnt(5)
	v_mul_f32_e32 v33, v27, v37
	v_fma_f32 v33, v19, v36, -v33
	v_mul_f32_e32 v19, v19, v37
	v_fmac_f32_e32 v19, v27, v36
	s_waitcnt lgkmcnt(4)
	v_mul_f32_e32 v27, v25, v39
	v_fma_f32 v27, v17, v38, -v27
	v_mul_f32_e32 v17, v17, v39
	v_fmac_f32_e32 v17, v25, v38
	v_mul_lo_u16_sdwa v25, v42, s4 dst_sel:DWORD dst_unused:UNUSED_PAD src0_sel:BYTE_0 src1_sel:DWORD
	v_lshrrev_b16_e32 v48, 11, v25
	v_mul_lo_u16_e32 v25, 12, v48
	v_sub_u16_e32 v49, v42, v25
	v_lshlrev_b32_sdwa v25, v40, v49 dst_sel:DWORD dst_unused:UNUSED_PAD src0_sel:DWORD src1_sel:BYTE_0
	global_load_dwordx4 v[36:39], v25, s[12:13] offset:80
	s_mov_b32 s4, 0xaaab
	s_waitcnt vmcnt(0)
	v_mul_f32_e32 v25, v28, v37
	v_fma_f32 v25, v20, v36, -v25
	v_mul_f32_e32 v20, v20, v37
	v_fmac_f32_e32 v20, v28, v36
	v_mul_f32_e32 v28, v26, v39
	v_fma_f32 v28, v18, v38, -v28
	v_mul_f32_e32 v18, v18, v39
	v_fmac_f32_e32 v18, v26, v38
	v_mul_u32_u24_sdwa v26, v45, s4 dst_sel:DWORD dst_unused:UNUSED_PAD src0_sel:WORD_0 src1_sel:DWORD
	v_lshrrev_b32_e32 v50, 19, v26
	v_mul_lo_u16_e32 v26, 12, v50
	v_sub_u16_e32 v45, v45, v26
	v_lshlrev_b32_e32 v26, 4, v45
	global_load_dwordx4 v[36:39], v26, s[12:13] offset:80
	s_waitcnt vmcnt(0) lgkmcnt(3)
	v_mul_f32_e32 v26, v23, v37
	v_fma_f32 v26, v15, v36, -v26
	v_mul_f32_e32 v15, v15, v37
	v_fmac_f32_e32 v15, v23, v36
	s_waitcnt lgkmcnt(0)
	v_mul_f32_e32 v23, v21, v39
	v_fma_f32 v23, v13, v38, -v23
	v_mul_f32_e32 v13, v13, v39
	v_fmac_f32_e32 v13, v21, v38
	v_mul_u32_u24_sdwa v21, v44, s4 dst_sel:DWORD dst_unused:UNUSED_PAD src0_sel:WORD_0 src1_sel:DWORD
	v_lshrrev_b32_e32 v51, 19, v21
	v_mul_lo_u16_e32 v21, 12, v51
	v_sub_u16_e32 v44, v44, v21
	v_lshlrev_b32_e32 v21, 4, v44
	global_load_dwordx4 v[36:39], v21, s[12:13] offset:80
	s_waitcnt vmcnt(0)
	v_mul_f32_e32 v21, v24, v37
	v_fma_f32 v21, v16, v36, -v21
	v_mul_f32_e32 v16, v16, v37
	v_fmac_f32_e32 v16, v24, v36
	v_mul_f32_e32 v24, v22, v39
	v_fma_f32 v24, v14, v38, -v24
	v_mul_f32_e32 v14, v14, v39
	v_fmac_f32_e32 v14, v22, v38
	v_mul_u32_u24_sdwa v22, v43, s4 dst_sel:DWORD dst_unused:UNUSED_PAD src0_sel:WORD_0 src1_sel:DWORD
	v_lshrrev_b32_e32 v22, 19, v22
	v_mul_lo_u16_e32 v36, 12, v22
	v_sub_u16_e32 v52, v43, v36
	v_lshlrev_b32_e32 v36, 4, v52
	global_load_dwordx4 v[37:40], v36, s[12:13] offset:80
	s_waitcnt vmcnt(0)
	s_barrier
	v_mul_f32_e32 v36, v34, v38
	v_fma_f32 v36, v35, v37, -v36
	v_mul_f32_e32 v35, v35, v38
	v_fmac_f32_e32 v35, v34, v37
	v_mul_f32_e32 v34, v29, v40
	v_fma_f32 v34, v31, v39, -v34
	v_mul_f32_e32 v31, v31, v40
	v_add_f32_e32 v37, v33, v27
	v_fmac_f32_e32 v31, v29, v39
	v_add_f32_e32 v29, v11, v33
	v_fma_f32 v11, -0.5, v37, v11
	v_sub_f32_e32 v37, v19, v17
	v_mov_b32_e32 v39, v11
	v_add_f32_e32 v38, v25, v28
	v_fmac_f32_e32 v39, 0x3f5db3d7, v37
	v_fmac_f32_e32 v11, 0xbf5db3d7, v37
	v_add_f32_e32 v37, v12, v25
	v_fmac_f32_e32 v12, -0.5, v38
	v_sub_f32_e32 v38, v20, v18
	v_mov_b32_e32 v40, v12
	v_fmac_f32_e32 v40, 0x3f5db3d7, v38
	v_fmac_f32_e32 v12, 0xbf5db3d7, v38
	v_add_f32_e32 v38, v9, v26
	v_add_f32_e32 v43, v38, v23
	;; [unrolled: 1-line block ×3, first 2 shown]
	v_fma_f32 v9, -0.5, v38, v9
	v_sub_f32_e32 v38, v15, v13
	v_mov_b32_e32 v53, v9
	v_fmac_f32_e32 v53, 0x3f5db3d7, v38
	v_fmac_f32_e32 v9, 0xbf5db3d7, v38
	v_add_f32_e32 v38, v10, v21
	v_add_f32_e32 v54, v38, v24
	;; [unrolled: 1-line block ×3, first 2 shown]
	v_fmac_f32_e32 v10, -0.5, v38
	v_sub_f32_e32 v38, v16, v14
	v_mov_b32_e32 v55, v10
	v_fmac_f32_e32 v55, 0x3f5db3d7, v38
	v_fmac_f32_e32 v10, 0xbf5db3d7, v38
	v_mul_u32_u24_e32 v38, 0x90, v46
	v_mov_b32_e32 v46, 2
	v_lshlrev_b32_sdwa v47, v46, v47 dst_sel:DWORD dst_unused:UNUSED_PAD src0_sel:DWORD src1_sel:BYTE_0
	v_add_f32_e32 v29, v29, v27
	v_add3_u32 v38, 0, v38, v47
	ds_write2_b32 v38, v29, v39 offset1:12
	ds_write_b32 v38, v11 offset:96
	v_mul_u32_u24_e32 v11, 0x90, v48
	v_lshlrev_b32_sdwa v29, v46, v49 dst_sel:DWORD dst_unused:UNUSED_PAD src0_sel:DWORD src1_sel:BYTE_0
	v_add_f32_e32 v37, v37, v28
	v_add3_u32 v39, 0, v11, v29
	ds_write2_b32 v39, v37, v40 offset1:12
	ds_write_b32 v39, v12 offset:96
	v_mul_u32_u24_e32 v11, 0x90, v50
	v_lshlrev_b32_e32 v12, 2, v45
	v_add3_u32 v40, 0, v11, v12
	ds_write2_b32 v40, v43, v53 offset1:12
	ds_write_b32 v40, v9 offset:96
	v_mul_u32_u24_e32 v9, 0x90, v51
	v_lshlrev_b32_e32 v11, 2, v44
	v_add3_u32 v43, 0, v9, v11
	v_mul_lo_u16_e32 v29, 36, v22
	v_lshlrev_b32_e32 v37, 2, v52
	ds_write2_b32 v43, v54, v55 offset1:12
	ds_write_b32 v43, v10 offset:96
	s_and_saveexec_b64 s[4:5], vcc
	s_cbranch_execz .LBB0_27
; %bb.26:
	v_add_f32_e32 v9, v36, v34
	v_fma_f32 v9, -0.5, v9, v30
	v_sub_f32_e32 v10, v35, v31
	v_mov_b32_e32 v11, v9
	v_fmac_f32_e32 v11, 0xbf5db3d7, v10
	v_fmac_f32_e32 v9, 0x3f5db3d7, v10
	v_add_f32_e32 v10, v30, v36
	v_lshlrev_b32_e32 v12, 2, v29
	v_add_f32_e32 v10, v10, v34
	v_add3_u32 v12, 0, v37, v12
	ds_write2_b32 v12, v10, v9 offset1:12
	ds_write_b32 v12, v11 offset:96
.LBB0_27:
	s_or_b64 exec, exec, s[4:5]
	v_add_f32_e32 v9, v5, v19
	v_add_f32_e32 v30, v9, v17
	v_add_f32_e32 v9, v19, v17
	v_fma_f32 v5, -0.5, v9, v5
	v_sub_f32_e32 v9, v33, v27
	v_mov_b32_e32 v33, v5
	v_fmac_f32_e32 v33, 0xbf5db3d7, v9
	v_fmac_f32_e32 v5, 0x3f5db3d7, v9
	v_add_f32_e32 v9, v6, v20
	v_add_f32_e32 v44, v9, v18
	;; [unrolled: 1-line block ×3, first 2 shown]
	v_fmac_f32_e32 v6, -0.5, v9
	v_sub_f32_e32 v9, v25, v28
	v_mov_b32_e32 v28, v6
	v_fmac_f32_e32 v28, 0xbf5db3d7, v9
	v_fmac_f32_e32 v6, 0x3f5db3d7, v9
	v_add_f32_e32 v9, v7, v15
	v_add_f32_e32 v45, v9, v13
	;; [unrolled: 1-line block ×3, first 2 shown]
	v_fma_f32 v46, -0.5, v9, v7
	v_sub_f32_e32 v7, v26, v23
	v_mov_b32_e32 v47, v46
	v_fmac_f32_e32 v47, 0xbf5db3d7, v7
	v_fmac_f32_e32 v46, 0x3f5db3d7, v7
	v_add_f32_e32 v7, v8, v16
	v_add_f32_e32 v48, v7, v14
	;; [unrolled: 1-line block ×3, first 2 shown]
	v_fmac_f32_e32 v8, -0.5, v7
	v_sub_f32_e32 v7, v21, v24
	v_mov_b32_e32 v49, v8
	v_fmac_f32_e32 v49, 0xbf5db3d7, v7
	v_fmac_f32_e32 v8, 0x3f5db3d7, v7
	v_add_u32_e32 v7, 0x200, v0
	v_add_u32_e32 v23, 0x600, v0
	;; [unrolled: 1-line block ×6, first 2 shown]
	s_waitcnt lgkmcnt(0)
	s_barrier
	ds_read2_b32 v[9:10], v0 offset1:126
	ds_read2_b32 v[21:22], v7 offset0:124 offset1:250
	ds_read2_b32 v[19:20], v23 offset0:120 offset1:246
	;; [unrolled: 1-line block ×6, first 2 shown]
	s_waitcnt lgkmcnt(0)
	s_barrier
	ds_write2_b32 v38, v30, v33 offset1:12
	ds_write_b32 v38, v5 offset:96
	ds_write2_b32 v39, v44, v28 offset1:12
	ds_write_b32 v39, v6 offset:96
	;; [unrolled: 2-line block ×4, first 2 shown]
	s_and_saveexec_b64 s[4:5], vcc
	s_cbranch_execz .LBB0_29
; %bb.28:
	v_add_f32_e32 v6, v35, v31
	v_add_f32_e32 v5, v32, v35
	v_fmac_f32_e32 v32, -0.5, v6
	v_sub_f32_e32 v6, v36, v34
	v_mov_b32_e32 v8, v32
	v_fmac_f32_e32 v8, 0xbf5db3d7, v6
	v_fmac_f32_e32 v32, 0x3f5db3d7, v6
	v_lshlrev_b32_e32 v6, 2, v29
	v_add_f32_e32 v5, v5, v31
	v_add3_u32 v6, 0, v37, v6
	ds_write2_b32 v6, v5, v8 offset1:12
	ds_write_b32 v6, v32 offset:96
.LBB0_29:
	s_or_b64 exec, exec, s[4:5]
	v_mov_b32_e32 v5, 57
	v_mul_lo_u16_sdwa v6, v41, v5 dst_sel:DWORD dst_unused:UNUSED_PAD src0_sel:BYTE_0 src1_sel:DWORD
	v_lshrrev_b16_e32 v8, 11, v6
	v_mul_lo_u16_e32 v6, 36, v8
	v_sub_u16_e32 v40, v41, v6
	v_mov_b32_e32 v6, 6
	v_mul_u32_u24_sdwa v28, v40, v6 dst_sel:DWORD dst_unused:UNUSED_PAD src0_sel:BYTE_0 src1_sel:DWORD
	v_lshlrev_b32_e32 v55, 3, v28
	v_mul_lo_u16_sdwa v5, v42, v5 dst_sel:DWORD dst_unused:UNUSED_PAD src0_sel:BYTE_0 src1_sel:DWORD
	s_waitcnt lgkmcnt(0)
	s_barrier
	global_load_dwordx4 v[28:31], v55, s[12:13] offset:272
	v_lshrrev_b16_e32 v57, 11, v5
	v_mul_lo_u16_e32 v5, 36, v57
	v_sub_u16_e32 v58, v42, v5
	v_mul_u32_u24_sdwa v5, v58, v6 dst_sel:DWORD dst_unused:UNUSED_PAD src0_sel:BYTE_0 src1_sel:DWORD
	v_lshlrev_b32_e32 v5, 3, v5
	global_load_dwordx4 v[32:35], v5, s[12:13] offset:272
	global_load_dwordx4 v[36:39], v55, s[12:13] offset:288
	;; [unrolled: 1-line block ×5, first 2 shown]
	ds_read2_b32 v[5:6], v7 offset0:124 offset1:250
	ds_read2_b32 v[55:56], v23 offset0:120 offset1:246
	s_mov_b32 s4, 0x3f5ff5aa
	s_mov_b32 s5, 0x3f3bfb3b
	;; [unrolled: 1-line block ×4, first 2 shown]
	v_mul_u32_u24_e32 v8, 0x3f0, v8
	s_waitcnt vmcnt(5) lgkmcnt(1)
	v_mul_f32_e32 v59, v5, v29
	v_mul_f32_e32 v60, v21, v29
	s_waitcnt lgkmcnt(0)
	v_mul_f32_e32 v29, v55, v31
	v_mul_f32_e32 v61, v19, v31
	v_fmac_f32_e32 v60, v5, v28
	v_fma_f32 v62, v19, v30, -v29
	s_waitcnt vmcnt(4)
	v_mul_f32_e32 v5, v6, v33
	v_mul_f32_e32 v33, v22, v33
	;; [unrolled: 1-line block ×3, first 2 shown]
	v_fma_f32 v59, v21, v28, -v59
	v_fmac_f32_e32 v61, v55, v30
	ds_read2_b32 v[28:29], v24 offset0:116 offset1:242
	ds_read2_b32 v[30:31], v25 offset0:112 offset1:238
	v_fma_f32 v55, v22, v32, -v5
	v_fmac_f32_e32 v33, v6, v32
	v_fma_f32 v32, v20, v34, -v19
	v_mul_f32_e32 v35, v20, v35
	ds_read2_b32 v[19:20], v27 offset0:104 offset1:230
	ds_read2_b32 v[5:6], v26 offset0:108 offset1:234
	v_fmac_f32_e32 v35, v56, v34
	s_waitcnt vmcnt(3) lgkmcnt(3)
	v_mul_f32_e32 v21, v28, v37
	v_mul_f32_e32 v34, v17, v37
	;; [unrolled: 1-line block ×3, first 2 shown]
	s_waitcnt lgkmcnt(2)
	v_mul_f32_e32 v22, v30, v39
	v_fma_f32 v17, v17, v36, -v21
	v_fmac_f32_e32 v34, v28, v36
	v_fmac_f32_e32 v37, v30, v38
	s_waitcnt vmcnt(2)
	v_mul_f32_e32 v28, v11, v44
	s_waitcnt lgkmcnt(1)
	v_mul_f32_e32 v21, v19, v46
	v_mul_f32_e32 v30, v13, v46
	s_waitcnt lgkmcnt(0)
	v_mul_f32_e32 v39, v5, v44
	v_fmac_f32_e32 v28, v5, v43
	v_fma_f32 v5, v13, v45, -v21
	v_fmac_f32_e32 v30, v19, v45
	s_waitcnt vmcnt(1)
	v_mul_f32_e32 v13, v29, v48
	v_mul_f32_e32 v19, v18, v48
	v_fma_f32 v15, v15, v38, -v22
	v_fma_f32 v11, v11, v43, -v39
	ds_read2_b32 v[21:22], v0 offset1:126
	v_mul_f32_e32 v36, v31, v50
	v_fma_f32 v13, v18, v47, -v13
	v_mul_f32_e32 v18, v16, v50
	v_fmac_f32_e32 v19, v29, v47
	s_waitcnt vmcnt(0)
	v_mul_f32_e32 v29, v12, v52
	v_mul_f32_e32 v39, v20, v54
	;; [unrolled: 1-line block ×3, first 2 shown]
	v_fma_f32 v16, v16, v49, -v36
	v_mul_f32_e32 v36, v14, v54
	v_fmac_f32_e32 v18, v31, v49
	v_fmac_f32_e32 v29, v6, v51
	v_fma_f32 v6, v14, v53, -v39
	v_add_f32_e32 v14, v59, v5
	v_add_f32_e32 v31, v62, v11
	v_fma_f32 v12, v12, v51, -v38
	v_fmac_f32_e32 v36, v20, v53
	v_add_f32_e32 v20, v60, v30
	v_add_f32_e32 v38, v61, v28
	;; [unrolled: 1-line block ×4, first 2 shown]
	v_sub_f32_e32 v15, v15, v17
	v_sub_f32_e32 v17, v37, v34
	v_add_f32_e32 v34, v31, v14
	v_add_f32_e32 v37, v38, v20
	;; [unrolled: 1-line block ×3, first 2 shown]
	v_sub_f32_e32 v5, v59, v5
	v_sub_f32_e32 v30, v60, v30
	;; [unrolled: 1-line block ×4, first 2 shown]
	v_add_f32_e32 v37, v43, v37
	v_add_f32_e32 v9, v9, v34
	v_sub_f32_e32 v44, v31, v14
	v_sub_f32_e32 v45, v38, v20
	v_sub_f32_e32 v14, v14, v39
	v_sub_f32_e32 v20, v20, v43
	v_sub_f32_e32 v31, v39, v31
	v_sub_f32_e32 v38, v43, v38
	v_add_f32_e32 v46, v15, v11
	v_add_f32_e32 v47, v17, v28
	v_sub_f32_e32 v48, v15, v11
	v_sub_f32_e32 v49, v17, v28
	;; [unrolled: 1-line block ×4, first 2 shown]
	s_waitcnt lgkmcnt(0)
	v_add_f32_e32 v21, v21, v37
	v_mov_b32_e32 v50, v9
	v_sub_f32_e32 v15, v5, v15
	v_sub_f32_e32 v17, v30, v17
	v_add_f32_e32 v5, v46, v5
	v_add_f32_e32 v30, v47, v30
	v_mul_f32_e32 v14, 0x3f4a47b2, v14
	v_mul_f32_e32 v20, 0x3f4a47b2, v20
	;; [unrolled: 1-line block ×8, first 2 shown]
	v_fmac_f32_e32 v50, 0xbf955555, v34
	v_mov_b32_e32 v34, v21
	v_fmac_f32_e32 v34, 0xbf955555, v37
	v_fma_f32 v37, v44, s5, -v39
	v_fma_f32 v39, v45, s5, -v43
	;; [unrolled: 1-line block ×3, first 2 shown]
	v_fmac_f32_e32 v14, 0x3d64c772, v31
	v_fma_f32 v31, v45, s6, -v20
	v_fma_f32 v11, v11, s4, -v46
	v_fmac_f32_e32 v46, 0x3eae86e6, v15
	v_fma_f32 v28, v28, s4, -v47
	v_fmac_f32_e32 v47, 0x3eae86e6, v17
	v_fma_f32 v15, v15, s7, -v48
	v_fma_f32 v17, v17, s7, -v49
	v_fmac_f32_e32 v20, 0x3d64c772, v38
	v_add_f32_e32 v37, v37, v50
	v_add_f32_e32 v38, v39, v34
	;; [unrolled: 1-line block ×4, first 2 shown]
	v_fmac_f32_e32 v11, 0x3ee1c552, v5
	v_fmac_f32_e32 v28, 0x3ee1c552, v30
	;; [unrolled: 1-line block ×4, first 2 shown]
	v_add_f32_e32 v20, v20, v34
	v_add_f32_e32 v34, v17, v39
	v_sub_f32_e32 v43, v31, v15
	v_sub_f32_e32 v44, v37, v28
	v_add_f32_e32 v45, v11, v38
	v_add_f32_e32 v28, v28, v37
	v_sub_f32_e32 v37, v38, v11
	v_sub_f32_e32 v11, v39, v17
	v_add_f32_e32 v31, v15, v31
	v_add_f32_e32 v15, v55, v6
	;; [unrolled: 1-line block ×3, first 2 shown]
	v_sub_f32_e32 v33, v33, v36
	v_add_f32_e32 v36, v32, v12
	v_add_f32_e32 v38, v35, v29
	v_sub_f32_e32 v12, v32, v12
	v_sub_f32_e32 v29, v35, v29
	v_add_f32_e32 v32, v13, v16
	v_add_f32_e32 v35, v19, v18
	v_sub_f32_e32 v13, v16, v13
	v_sub_f32_e32 v16, v18, v19
	v_add_f32_e32 v18, v36, v15
	v_add_f32_e32 v19, v38, v17
	;; [unrolled: 1-line block ×4, first 2 shown]
	v_fmac_f32_e32 v46, 0x3ee1c552, v5
	v_fmac_f32_e32 v47, 0x3ee1c552, v30
	v_sub_f32_e32 v6, v55, v6
	v_add_f32_e32 v19, v35, v19
	v_add_f32_e32 v10, v10, v18
	;; [unrolled: 1-line block ×3, first 2 shown]
	v_sub_f32_e32 v30, v20, v46
	v_sub_f32_e32 v14, v14, v47
	v_add_f32_e32 v20, v46, v20
	v_sub_f32_e32 v39, v36, v15
	v_sub_f32_e32 v46, v38, v17
	;; [unrolled: 1-line block ×6, first 2 shown]
	v_add_f32_e32 v47, v13, v12
	v_add_f32_e32 v48, v16, v29
	v_sub_f32_e32 v49, v13, v12
	v_sub_f32_e32 v50, v16, v29
	;; [unrolled: 1-line block ×3, first 2 shown]
	v_add_f32_e32 v22, v22, v19
	v_mov_b32_e32 v51, v10
	v_sub_f32_e32 v13, v6, v13
	v_sub_f32_e32 v16, v33, v16
	v_sub_f32_e32 v29, v29, v33
	v_add_f32_e32 v6, v47, v6
	v_add_f32_e32 v32, v48, v33
	v_mul_f32_e32 v15, 0x3f4a47b2, v15
	v_mul_f32_e32 v17, 0x3f4a47b2, v17
	;; [unrolled: 1-line block ×7, first 2 shown]
	v_fmac_f32_e32 v51, 0xbf955555, v18
	v_mov_b32_e32 v18, v22
	v_mul_f32_e32 v50, 0x3f5ff5aa, v29
	v_fmac_f32_e32 v18, 0xbf955555, v19
	v_fma_f32 v19, v39, s5, -v33
	v_fma_f32 v33, v46, s5, -v35
	;; [unrolled: 1-line block ×3, first 2 shown]
	v_fmac_f32_e32 v15, 0x3d64c772, v36
	v_fma_f32 v36, v46, s6, -v17
	v_fmac_f32_e32 v17, 0x3d64c772, v38
	v_fma_f32 v12, v12, s4, -v47
	;; [unrolled: 2-line block ×4, first 2 shown]
	v_fma_f32 v16, v16, s7, -v50
	v_add_f32_e32 v15, v15, v51
	v_add_f32_e32 v17, v17, v18
	;; [unrolled: 1-line block ×5, first 2 shown]
	v_fmac_f32_e32 v48, 0x3ee1c552, v32
	v_fmac_f32_e32 v12, 0x3ee1c552, v6
	;; [unrolled: 1-line block ×4, first 2 shown]
	v_add_f32_e32 v35, v35, v51
	v_fmac_f32_e32 v47, 0x3ee1c552, v6
	v_fmac_f32_e32 v16, 0x3ee1c552, v32
	v_add_f32_e32 v6, v48, v15
	v_sub_f32_e32 v38, v18, v13
	v_sub_f32_e32 v39, v19, v29
	v_add_f32_e32 v46, v12, v33
	v_add_f32_e32 v19, v29, v19
	v_sub_f32_e32 v29, v33, v12
	v_add_f32_e32 v33, v13, v18
	v_sub_f32_e32 v13, v15, v48
	v_mov_b32_e32 v15, 2
	v_add_f32_e32 v36, v16, v35
	v_sub_f32_e32 v12, v35, v16
	v_lshlrev_b32_sdwa v16, v15, v40 dst_sel:DWORD dst_unused:UNUSED_PAD src0_sel:DWORD src1_sel:BYTE_0
	v_add3_u32 v40, 0, v8, v16
	s_barrier
	ds_write2_b32 v40, v9, v5 offset1:36
	ds_write2_b32 v40, v34, v44 offset0:72 offset1:108
	ds_write2_b32 v40, v28, v11 offset0:144 offset1:180
	ds_write_b32 v40, v14 offset:864
	v_mul_u32_u24_e32 v5, 0x3f0, v57
	v_lshlrev_b32_sdwa v8, v15, v58 dst_sel:DWORD dst_unused:UNUSED_PAD src0_sel:DWORD src1_sel:BYTE_0
	v_add3_u32 v28, 0, v5, v8
	v_sub_f32_e32 v32, v17, v47
	v_add_f32_e32 v35, v47, v17
	ds_write2_b32 v28, v10, v6 offset1:36
	ds_write2_b32 v28, v36, v39 offset0:72 offset1:108
	ds_write2_b32 v28, v19, v12 offset0:144 offset1:180
	ds_write_b32 v28, v13 offset:864
	s_waitcnt lgkmcnt(0)
	s_barrier
	ds_read2_b32 v[5:6], v0 offset1:126
	ds_read2_b32 v[11:12], v7 offset0:124 offset1:250
	ds_read2_b32 v[7:8], v23 offset0:120 offset1:246
	;; [unrolled: 1-line block ×6, first 2 shown]
	s_waitcnt lgkmcnt(0)
	s_barrier
	ds_write2_b32 v40, v21, v30 offset1:36
	ds_write2_b32 v40, v43, v45 offset0:72 offset1:108
	ds_write2_b32 v40, v37, v31 offset0:144 offset1:180
	ds_write_b32 v40, v20 offset:864
	ds_write2_b32 v28, v22, v32 offset1:36
	ds_write2_b32 v28, v38, v46 offset0:72 offset1:108
	ds_write2_b32 v28, v29, v33 offset0:144 offset1:180
	ds_write_b32 v28, v35 offset:864
	s_waitcnt lgkmcnt(0)
	s_barrier
	s_and_saveexec_b64 s[8:9], s[0:1]
	s_cbranch_execz .LBB0_31
; %bb.30:
	v_mul_u32_u24_e32 v19, 6, v42
	v_lshlrev_b32_e32 v31, 3, v19
	global_load_dwordx4 v[19:22], v31, s[12:13] offset:2000
	global_load_dwordx4 v[23:26], v31, s[12:13] offset:2032
	;; [unrolled: 1-line block ×3, first 2 shown]
	v_add_u32_e32 v31, 0x200, v0
	v_add_u32_e32 v46, 0x600, v0
	;; [unrolled: 1-line block ×6, first 2 shown]
	ds_read2_b32 v[35:36], v0 offset1:126
	ds_read2_b32 v[37:38], v31 offset0:124 offset1:250
	ds_read2_b32 v[39:40], v32 offset0:104 offset1:230
	;; [unrolled: 1-line block ×6, first 2 shown]
	v_mul_lo_u32 v50, s3, v3
	v_mul_lo_u32 v51, s2, v4
	v_mad_u64_u32 v[3:4], s[0:1], s2, v3, 0
	v_mul_u32_u24_e32 v0, 6, v41
	v_lshlrev_b32_e32 v0, 3, v0
	v_add3_u32 v4, v4, v51, v50
	global_load_dwordx4 v[31:34], v0, s[12:13] offset:2000
	s_mov_b32 s0, 0x20820821
	s_movk_i32 s1, 0xfc
	v_lshlrev_b64 v[3:4], 3, v[3:4]
	s_movk_i32 s2, 0x1000
	v_add_co_u32_e32 v3, vcc, s10, v3
	s_waitcnt vmcnt(3) lgkmcnt(5)
	v_mul_f32_e32 v50, v38, v20
	s_waitcnt vmcnt(2) lgkmcnt(4)
	v_mul_f32_e32 v51, v40, v26
	;; [unrolled: 2-line block ×3, first 2 shown]
	s_waitcnt lgkmcnt(2)
	v_mul_f32_e32 v53, v45, v28
	s_waitcnt lgkmcnt(1)
	v_mul_f32_e32 v54, v47, v22
	;; [unrolled: 2-line block ×3, first 2 shown]
	v_mul_f32_e32 v28, v18, v28
	v_mul_f32_e32 v30, v16, v30
	;; [unrolled: 1-line block ×6, first 2 shown]
	v_fmac_f32_e32 v28, v27, v45
	v_fmac_f32_e32 v30, v29, v43
	v_fma_f32 v12, v12, v19, -v50
	v_fma_f32 v14, v14, v25, -v51
	;; [unrolled: 1-line block ×4, first 2 shown]
	v_fmac_f32_e32 v24, v23, v49
	v_fmac_f32_e32 v22, v21, v47
	v_fma_f32 v16, v16, v29, -v52
	v_fma_f32 v18, v18, v27, -v53
	v_fmac_f32_e32 v26, v25, v40
	v_fmac_f32_e32 v20, v19, v38
	v_sub_f32_e32 v19, v12, v14
	v_sub_f32_e32 v23, v8, v10
	v_add_f32_e32 v27, v30, v28
	v_add_f32_e32 v29, v22, v24
	;; [unrolled: 1-line block ×6, first 2 shown]
	v_sub_f32_e32 v10, v20, v26
	v_sub_f32_e32 v26, v27, v29
	v_add_f32_e32 v40, v12, v8
	v_sub_f32_e32 v21, v16, v18
	v_sub_f32_e32 v16, v30, v28
	v_add_f32_e32 v28, v25, v29
	v_sub_f32_e32 v30, v12, v14
	v_sub_f32_e32 v38, v14, v8
	v_mul_f32_e32 v43, 0x3d64c772, v26
	v_add_f32_e32 v14, v14, v40
	v_sub_f32_e32 v18, v22, v24
	v_sub_f32_e32 v20, v19, v21
	;; [unrolled: 1-line block ×3, first 2 shown]
	v_add_f32_e32 v21, v21, v23
	v_sub_f32_e32 v24, v25, v27
	v_add_f32_e32 v28, v27, v28
	v_mov_b32_e32 v45, v43
	v_add_f32_e32 v26, v6, v14
	v_sub_f32_e32 v23, v23, v19
	v_mul_f32_e32 v22, 0xbf08b237, v22
	v_add_f32_e32 v19, v19, v21
	v_mul_f32_e32 v21, 0x3f4a47b2, v24
	v_add_f32_e32 v27, v36, v28
	v_fmac_f32_e32 v45, 0x3f4a47b2, v24
	v_mov_b32_e32 v24, v26
	v_mul_f32_e32 v40, 0x3f5ff5aa, v23
	v_mov_b32_e32 v6, v27
	v_fmac_f32_e32 v24, 0xbf955555, v14
	v_mov_b32_e32 v14, v22
	v_fmac_f32_e32 v6, 0xbf955555, v28
	v_fmac_f32_e32 v14, 0x3eae86e6, v20
	v_fma_f32 v40, v20, s7, -v40
	v_sub_f32_e32 v20, v10, v16
	v_sub_f32_e32 v28, v16, v18
	v_add_f32_e32 v16, v16, v18
	v_add_f32_e32 v36, v45, v6
	v_mul_f32_e32 v45, 0xbf08b237, v28
	v_add_f32_e32 v16, v10, v16
	v_sub_f32_e32 v10, v18, v10
	v_sub_f32_e32 v25, v29, v25
	v_sub_f32_e32 v8, v8, v12
	v_mov_b32_e32 v12, v45
	v_mul_f32_e32 v18, 0x3f5ff5aa, v10
	v_fmac_f32_e32 v12, 0x3eae86e6, v20
	v_fma_f32 v21, v25, s6, -v21
	v_fma_f32 v47, v20, s7, -v18
	;; [unrolled: 1-line block ×3, first 2 shown]
	v_mul_f32_e32 v20, 0x3d64c772, v38
	v_add_f32_e32 v25, v21, v6
	v_add_f32_e32 v6, v18, v6
	v_mov_b32_e32 v18, v20
	v_fmac_f32_e32 v18, 0x3f4a47b2, v30
	v_mul_f32_e32 v21, 0x3f4a47b2, v30
	v_add_f32_e32 v30, v18, v24
	v_fma_f32 v18, v23, s4, -v22
	v_fmac_f32_e32 v14, 0x3ee1c552, v19
	v_fmac_f32_e32 v40, 0x3ee1c552, v19
	;; [unrolled: 1-line block ×3, first 2 shown]
	v_fma_f32 v19, v8, s6, -v21
	v_add_f32_e32 v22, v19, v24
	v_fmac_f32_e32 v47, 0x3ee1c552, v16
	v_fma_f32 v8, v8, s5, -v20
	v_add_f32_e32 v50, v40, v25
	v_add_f32_e32 v8, v8, v24
	v_sub_f32_e32 v49, v22, v47
	v_sub_f32_e32 v56, v25, v40
	v_add_f32_e32 v55, v47, v22
	global_load_dwordx4 v[22:25], v0, s[12:13] offset:2032
	v_sub_f32_e32 v52, v6, v18
	v_add_f32_e32 v54, v18, v6
	global_load_dwordx4 v[18:21], v0, s[12:13] offset:2016
	v_fmac_f32_e32 v12, 0x3ee1c552, v16
	v_fma_f32 v10, v10, s4, -v45
	s_waitcnt vmcnt(2)
	v_mul_f32_e32 v6, v37, v32
	v_sub_f32_e32 v28, v30, v12
	v_fmac_f32_e32 v10, 0x3ee1c552, v16
	v_add_f32_e32 v57, v12, v30
	v_fma_f32 v12, v11, v31, -v6
	v_add_f32_e32 v29, v14, v36
	v_add_f32_e32 v51, v10, v8
	v_sub_f32_e32 v53, v8, v10
	v_sub_f32_e32 v58, v36, v14
	v_mul_f32_e32 v8, v46, v34
	v_mul_f32_e32 v11, v11, v32
	v_fmac_f32_e32 v11, v31, v37
	s_waitcnt vmcnt(1)
	v_mul_f32_e32 v6, v39, v25
	v_fma_f32 v14, v13, v24, -v6
	v_mul_f32_e32 v13, v13, v25
	s_waitcnt vmcnt(0)
	v_mul_f32_e32 v6, v42, v21
	v_mul_f32_e32 v0, v44, v19
	;; [unrolled: 1-line block ×3, first 2 shown]
	v_fma_f32 v16, v15, v20, -v6
	v_mul_f32_e32 v15, v15, v21
	v_fma_f32 v19, v7, v33, -v8
	v_mul_f32_e32 v8, v48, v23
	v_fma_f32 v0, v17, v18, -v0
	v_fmac_f32_e32 v15, v20, v42
	v_fma_f32 v20, v9, v22, -v8
	v_sub_f32_e32 v17, v12, v14
	v_sub_f32_e32 v6, v16, v0
	;; [unrolled: 1-line block ×3, first 2 shown]
	v_mul_f32_e32 v9, v9, v23
	v_mul_f32_e32 v7, v7, v34
	v_add_f32_e32 v0, v16, v0
	v_add_f32_e32 v19, v19, v20
	v_fmac_f32_e32 v10, v18, v44
	v_sub_f32_e32 v18, v17, v6
	v_sub_f32_e32 v8, v6, v21
	v_add_f32_e32 v6, v6, v21
	v_fmac_f32_e32 v9, v22, v48
	v_fmac_f32_e32 v7, v33, v46
	v_sub_f32_e32 v20, v0, v19
	v_add_f32_e32 v36, v17, v6
	v_add_f32_e32 v6, v15, v10
	;; [unrolled: 1-line block ×4, first 2 shown]
	v_mul_f32_e32 v20, 0x3d64c772, v20
	v_fmac_f32_e32 v13, v24, v39
	v_sub_f32_e32 v23, v6, v22
	v_sub_f32_e32 v14, v12, v0
	v_mov_b32_e32 v34, v20
	v_add_f32_e32 v24, v11, v13
	v_mul_f32_e32 v23, 0x3d64c772, v23
	v_mul_f32_e32 v16, 0x3f4a47b2, v14
	v_fmac_f32_e32 v34, 0x3f4a47b2, v14
	v_add_f32_e32 v14, v12, v19
	v_mul_f32_e32 v30, 0xbf08b237, v8
	v_sub_f32_e32 v8, v24, v6
	v_mov_b32_e32 v32, v23
	v_add_f32_e32 v0, v0, v14
	v_sub_f32_e32 v10, v15, v10
	v_sub_f32_e32 v9, v7, v9
	v_mul_f32_e32 v31, 0x3f4a47b2, v8
	v_fmac_f32_e32 v32, 0x3f4a47b2, v8
	v_add_f32_e32 v8, v24, v22
	v_add_f32_e32 v5, v5, v0
	v_sub_f32_e32 v7, v10, v9
	v_add_f32_e32 v8, v6, v8
	v_mov_b32_e32 v14, v5
	v_sub_f32_e32 v11, v11, v13
	v_mul_f32_e32 v15, 0xbf08b237, v7
	v_add_f32_e32 v7, v10, v9
	v_add_f32_e32 v6, v35, v8
	v_fmac_f32_e32 v14, 0xbf955555, v0
	v_sub_f32_e32 v13, v11, v10
	v_add_f32_e32 v35, v11, v7
	v_sub_f32_e32 v19, v19, v12
	v_sub_f32_e32 v11, v9, v11
	v_add_f32_e32 v0, v34, v14
	v_mov_b32_e32 v34, v15
	v_sub_f32_e32 v17, v21, v17
	v_fma_f32 v12, v19, s6, -v16
	v_mul_f32_e32 v9, 0x3f5ff5aa, v11
	v_fma_f32 v15, v11, s4, -v15
	v_fma_f32 v11, v19, s5, -v20
	v_mul_f32_e32 v10, 0x3f5ff5aa, v17
	v_sub_f32_e32 v21, v22, v24
	v_add_f32_e32 v24, v12, v14
	v_fma_f32 v16, v17, s4, -v30
	v_add_f32_e32 v17, v11, v14
	v_lshrrev_b32_e32 v14, 2, v41
	v_mul_hi_u32 v19, v14, s0
	v_mov_b32_e32 v33, v6
	v_mov_b32_e32 v25, v30
	v_fmac_f32_e32 v33, 0xbf955555, v8
	v_fma_f32 v12, v21, s5, -v23
	v_fmac_f32_e32 v25, 0x3eae86e6, v18
	v_fmac_f32_e32 v34, 0x3eae86e6, v13
	v_fma_f32 v18, v18, s7, -v10
	v_fma_f32 v10, v21, s6, -v31
	;; [unrolled: 1-line block ×3, first 2 shown]
	v_add_f32_e32 v13, v12, v33
	v_fmac_f32_e32 v16, 0x3ee1c552, v36
	v_fmac_f32_e32 v15, 0x3ee1c552, v35
	v_sub_f32_e32 v12, v13, v16
	v_add_f32_e32 v11, v15, v17
	v_add_f32_e32 v14, v16, v13
	v_sub_f32_e32 v13, v17, v15
	v_lshrrev_b32_e32 v15, 3, v19
	v_fmac_f32_e32 v34, 0x3ee1c552, v35
	v_mul_lo_u32 v19, v15, s1
	v_sub_f32_e32 v7, v0, v34
	v_add_f32_e32 v17, v34, v0
	v_mov_b32_e32 v0, s11
	v_addc_co_u32_e32 v4, vcc, v0, v4, vcc
	v_lshlrev_b64 v[0:1], 3, v[1:2]
	v_sub_u32_e32 v19, v41, v19
	v_add_co_u32_e32 v20, vcc, v3, v0
	v_addc_co_u32_e32 v21, vcc, v4, v1, vcc
	v_lshlrev_b32_e32 v0, 3, v19
	v_add_co_u32_e32 v2, vcc, v20, v0
	v_fmac_f32_e32 v25, 0x3ee1c552, v36
	v_add_f32_e32 v32, v32, v33
	v_fmac_f32_e32 v18, 0x3ee1c552, v36
	v_add_f32_e32 v22, v10, v33
	v_fmac_f32_e32 v31, 0x3ee1c552, v35
	v_addc_co_u32_e32 v3, vcc, 0, v21, vcc
	v_add_u32_e32 v0, 0x7e, v41
	v_add_f32_e32 v10, v18, v22
	v_sub_f32_e32 v16, v22, v18
	v_add_f32_e32 v15, v31, v24
	v_sub_f32_e32 v18, v32, v25
	global_store_dwordx2 v[2:3], v[5:6], off
	global_store_dwordx2 v[2:3], v[17:18], off offset:2016
	global_store_dwordx2 v[2:3], v[15:16], off offset:4032
	v_lshrrev_b32_e32 v6, 2, v0
	v_mul_hi_u32 v6, v6, s0
	v_add_co_u32_e32 v4, vcc, s2, v2
	v_addc_co_u32_e32 v5, vcc, 0, v3, vcc
	global_store_dwordx2 v[4:5], v[13:14], off offset:1952
	global_store_dwordx2 v[4:5], v[11:12], off offset:3968
	v_lshrrev_b32_e32 v4, 3, v6
	v_mul_lo_u32 v5, v4, s1
	s_movk_i32 s0, 0x2000
	v_mov_b32_e32 v1, 0
	v_add_co_u32_e32 v2, vcc, s0, v2
	v_sub_u32_e32 v0, v0, v5
	s_movk_i32 s0, 0x6e4
	v_mad_u64_u32 v[4:5], s[0:1], v4, s0, v[0:1]
	v_sub_f32_e32 v9, v24, v31
	v_addc_co_u32_e32 v3, vcc, 0, v3, vcc
	v_mov_b32_e32 v5, v1
	v_add_f32_e32 v8, v25, v32
	global_store_dwordx2 v[2:3], v[9:10], off offset:1888
	global_store_dwordx2 v[2:3], v[7:8], off offset:3904
	v_lshlrev_b64 v[2:3], 3, v[4:5]
	v_add_u32_e32 v0, 0xfc, v4
	v_add_co_u32_e32 v2, vcc, v20, v2
	v_addc_co_u32_e32 v3, vcc, v21, v3, vcc
	global_store_dwordx2 v[2:3], v[26:27], off
	v_lshlrev_b64 v[2:3], 3, v[0:1]
	v_add_u32_e32 v0, 0x1f8, v4
	v_add_co_u32_e32 v2, vcc, v20, v2
	v_addc_co_u32_e32 v3, vcc, v21, v3, vcc
	global_store_dwordx2 v[2:3], v[57:58], off
	;; [unrolled: 5-line block ×5, first 2 shown]
	v_lshlrev_b64 v[2:3], 3, v[0:1]
	v_add_u32_e32 v0, 0x5e8, v4
	v_add_co_u32_e32 v2, vcc, v20, v2
	v_lshlrev_b64 v[0:1], 3, v[0:1]
	v_addc_co_u32_e32 v3, vcc, v21, v3, vcc
	v_add_co_u32_e32 v0, vcc, v20, v0
	v_addc_co_u32_e32 v1, vcc, v21, v1, vcc
	global_store_dwordx2 v[2:3], v[49:50], off
	global_store_dwordx2 v[0:1], v[28:29], off
.LBB0_31:
	s_endpgm
	.section	.rodata,"a",@progbits
	.p2align	6, 0x0
	.amdhsa_kernel fft_rtc_fwd_len1764_factors_2_2_3_3_7_7_wgs_126_tpt_126_halfLds_sp_op_CI_CI_unitstride_sbrr_dirReg
		.amdhsa_group_segment_fixed_size 0
		.amdhsa_private_segment_fixed_size 0
		.amdhsa_kernarg_size 104
		.amdhsa_user_sgpr_count 6
		.amdhsa_user_sgpr_private_segment_buffer 1
		.amdhsa_user_sgpr_dispatch_ptr 0
		.amdhsa_user_sgpr_queue_ptr 0
		.amdhsa_user_sgpr_kernarg_segment_ptr 1
		.amdhsa_user_sgpr_dispatch_id 0
		.amdhsa_user_sgpr_flat_scratch_init 0
		.amdhsa_user_sgpr_private_segment_size 0
		.amdhsa_uses_dynamic_stack 0
		.amdhsa_system_sgpr_private_segment_wavefront_offset 0
		.amdhsa_system_sgpr_workgroup_id_x 1
		.amdhsa_system_sgpr_workgroup_id_y 0
		.amdhsa_system_sgpr_workgroup_id_z 0
		.amdhsa_system_sgpr_workgroup_info 0
		.amdhsa_system_vgpr_workitem_id 0
		.amdhsa_next_free_vgpr 63
		.amdhsa_next_free_sgpr 28
		.amdhsa_reserve_vcc 1
		.amdhsa_reserve_flat_scratch 0
		.amdhsa_float_round_mode_32 0
		.amdhsa_float_round_mode_16_64 0
		.amdhsa_float_denorm_mode_32 3
		.amdhsa_float_denorm_mode_16_64 3
		.amdhsa_dx10_clamp 1
		.amdhsa_ieee_mode 1
		.amdhsa_fp16_overflow 0
		.amdhsa_exception_fp_ieee_invalid_op 0
		.amdhsa_exception_fp_denorm_src 0
		.amdhsa_exception_fp_ieee_div_zero 0
		.amdhsa_exception_fp_ieee_overflow 0
		.amdhsa_exception_fp_ieee_underflow 0
		.amdhsa_exception_fp_ieee_inexact 0
		.amdhsa_exception_int_div_zero 0
	.end_amdhsa_kernel
	.text
.Lfunc_end0:
	.size	fft_rtc_fwd_len1764_factors_2_2_3_3_7_7_wgs_126_tpt_126_halfLds_sp_op_CI_CI_unitstride_sbrr_dirReg, .Lfunc_end0-fft_rtc_fwd_len1764_factors_2_2_3_3_7_7_wgs_126_tpt_126_halfLds_sp_op_CI_CI_unitstride_sbrr_dirReg
                                        ; -- End function
	.section	.AMDGPU.csdata,"",@progbits
; Kernel info:
; codeLenInByte = 8984
; NumSgprs: 32
; NumVgprs: 63
; ScratchSize: 0
; MemoryBound: 0
; FloatMode: 240
; IeeeMode: 1
; LDSByteSize: 0 bytes/workgroup (compile time only)
; SGPRBlocks: 3
; VGPRBlocks: 15
; NumSGPRsForWavesPerEU: 32
; NumVGPRsForWavesPerEU: 63
; Occupancy: 4
; WaveLimiterHint : 1
; COMPUTE_PGM_RSRC2:SCRATCH_EN: 0
; COMPUTE_PGM_RSRC2:USER_SGPR: 6
; COMPUTE_PGM_RSRC2:TRAP_HANDLER: 0
; COMPUTE_PGM_RSRC2:TGID_X_EN: 1
; COMPUTE_PGM_RSRC2:TGID_Y_EN: 0
; COMPUTE_PGM_RSRC2:TGID_Z_EN: 0
; COMPUTE_PGM_RSRC2:TIDIG_COMP_CNT: 0
	.type	__hip_cuid_c35cc3a3a3209175,@object ; @__hip_cuid_c35cc3a3a3209175
	.section	.bss,"aw",@nobits
	.globl	__hip_cuid_c35cc3a3a3209175
__hip_cuid_c35cc3a3a3209175:
	.byte	0                               ; 0x0
	.size	__hip_cuid_c35cc3a3a3209175, 1

	.ident	"AMD clang version 19.0.0git (https://github.com/RadeonOpenCompute/llvm-project roc-6.4.0 25133 c7fe45cf4b819c5991fe208aaa96edf142730f1d)"
	.section	".note.GNU-stack","",@progbits
	.addrsig
	.addrsig_sym __hip_cuid_c35cc3a3a3209175
	.amdgpu_metadata
---
amdhsa.kernels:
  - .args:
      - .actual_access:  read_only
        .address_space:  global
        .offset:         0
        .size:           8
        .value_kind:     global_buffer
      - .offset:         8
        .size:           8
        .value_kind:     by_value
      - .actual_access:  read_only
        .address_space:  global
        .offset:         16
        .size:           8
        .value_kind:     global_buffer
      - .actual_access:  read_only
        .address_space:  global
        .offset:         24
        .size:           8
        .value_kind:     global_buffer
      - .actual_access:  read_only
        .address_space:  global
        .offset:         32
        .size:           8
        .value_kind:     global_buffer
      - .offset:         40
        .size:           8
        .value_kind:     by_value
      - .actual_access:  read_only
        .address_space:  global
        .offset:         48
        .size:           8
        .value_kind:     global_buffer
      - .actual_access:  read_only
        .address_space:  global
        .offset:         56
        .size:           8
        .value_kind:     global_buffer
      - .offset:         64
        .size:           4
        .value_kind:     by_value
      - .actual_access:  read_only
        .address_space:  global
        .offset:         72
        .size:           8
        .value_kind:     global_buffer
      - .actual_access:  read_only
        .address_space:  global
        .offset:         80
        .size:           8
        .value_kind:     global_buffer
      - .actual_access:  read_only
        .address_space:  global
        .offset:         88
        .size:           8
        .value_kind:     global_buffer
      - .actual_access:  write_only
        .address_space:  global
        .offset:         96
        .size:           8
        .value_kind:     global_buffer
    .group_segment_fixed_size: 0
    .kernarg_segment_align: 8
    .kernarg_segment_size: 104
    .language:       OpenCL C
    .language_version:
      - 2
      - 0
    .max_flat_workgroup_size: 126
    .name:           fft_rtc_fwd_len1764_factors_2_2_3_3_7_7_wgs_126_tpt_126_halfLds_sp_op_CI_CI_unitstride_sbrr_dirReg
    .private_segment_fixed_size: 0
    .sgpr_count:     32
    .sgpr_spill_count: 0
    .symbol:         fft_rtc_fwd_len1764_factors_2_2_3_3_7_7_wgs_126_tpt_126_halfLds_sp_op_CI_CI_unitstride_sbrr_dirReg.kd
    .uniform_work_group_size: 1
    .uses_dynamic_stack: false
    .vgpr_count:     63
    .vgpr_spill_count: 0
    .wavefront_size: 64
amdhsa.target:   amdgcn-amd-amdhsa--gfx906
amdhsa.version:
  - 1
  - 2
...

	.end_amdgpu_metadata
